;; amdgpu-corpus repo=ROCm/bitsandbytes kind=harvested arch=n/a opt=n/a
	.text
	.amdgcn_target "amdgcn-amd-amdhsa--gfx942"
	.amdhsa_code_object_version 6
	.protected	_Z20kDequantizeBlockwiseI12hip_bfloat16Li512ELi64ELi8ELi0EEvPfPhS1_PT_ii ; -- Begin function _Z20kDequantizeBlockwiseI12hip_bfloat16Li512ELi64ELi8ELi0EEvPfPhS1_PT_ii
	.globl	_Z20kDequantizeBlockwiseI12hip_bfloat16Li512ELi64ELi8ELi0EEvPfPhS1_PT_ii
	.p2align	8
	.type	_Z20kDequantizeBlockwiseI12hip_bfloat16Li512ELi64ELi8ELi0EEvPfPhS1_PT_ii,@function
_Z20kDequantizeBlockwiseI12hip_bfloat16Li512ELi64ELi8ELi0EEvPfPhS1_PT_ii: ; @_Z20kDequantizeBlockwiseI12hip_bfloat16Li512ELi64ELi8ELi0EEvPfPhS1_PT_ii
; %bb.0:
	s_load_dword s3, s[0:1], 0x28
	s_lshl_b32 s24, s2, 9
	s_waitcnt lgkmcnt(0)
	s_lshl_b32 s26, s3, 9
	s_cmp_ge_i32 s24, s26
	s_cbranch_scc1 .LBB160_67
; %bb.1:
	s_load_dwordx2 s[2:3], s[0:1], 0x20
	s_load_dwordx8 s[16:23], s[0:1], 0x0
	v_lshlrev_b32_e32 v8, 3, v0
	v_mbcnt_lo_u32_b32 v1, -1, 0
	v_mbcnt_hi_u32_b32 v2, -1, v1
	v_and_b32_e32 v6, 0x1e00, v8
	v_and_b32_e32 v0, 0x3c0, v0
	v_mov_b32_e32 v3, 0
	v_or_b32_e32 v9, v2, v6
	v_add_u32_e32 v0, v2, v0
	s_waitcnt lgkmcnt(0)
	v_lshl_add_u64 v[4:5], s[18:19], 0, v[2:3]
	v_mov_b32_e32 v7, v3
	v_lshrrev_b32_e32 v1, 5, v9
	v_lshlrev_b32_e32 v26, 3, v0
	v_bfe_u32 v0, v0, 2, 27
	v_lshl_add_u64 v[4:5], v[4:5], 0, v[6:7]
	v_add_u32_e32 v10, 64, v9
	v_and_b32_e32 v7, 0xf0, v1
	v_and_b32_e32 v25, 0x1fc, v0
	;; [unrolled: 1-line block ×3, first 2 shown]
	v_or_b32_e32 v11, 0x80, v9
	v_add_u32_e32 v17, v7, v9
	v_lshrrev_b32_e32 v7, 5, v10
	v_add_u32_e32 v25, v25, v26
	v_add_lshl_u32 v26, v0, v26, 1
	v_and_b32_e32 v0, 0xf2, v1
	v_add_u32_e32 v12, 0xc0, v9
	v_lshrrev_b32_e32 v29, 5, v11
	v_add_lshl_u32 v27, v0, v9, 1
	v_and_b32_e32 v0, 0xf6, v7
	v_or_b32_e32 v13, 0x100, v9
	v_lshrrev_b32_e32 v30, 5, v12
	v_add_lshl_u32 v28, v0, v10, 1
	v_and_b32_e32 v0, 0xf6, v29
	v_add_u32_e32 v14, 0x140, v9
	v_and_b32_e32 v19, 0xf4, v29
	v_lshrrev_b32_e32 v31, 5, v13
	v_add_lshl_u32 v29, v0, v11, 1
	v_and_b32_e32 v0, 0xfe, v30
	v_or_b32_e32 v15, 0x180, v9
	v_and_b32_e32 v20, 0xfc, v30
	v_lshrrev_b32_e32 v32, 5, v14
	v_add_lshl_u32 v30, v0, v12, 1
	v_and_b32_e32 v0, 0xfa, v31
	v_add_u32_e32 v16, 0x1c0, v9
	v_and_b32_e32 v21, 0xf8, v31
	v_lshrrev_b32_e32 v33, 5, v15
	v_add_lshl_u32 v31, v0, v13, 1
	v_and_b32_e32 v0, 0xfe, v32
	v_and_b32_e32 v22, 0xfc, v32
	v_lshrrev_b32_e32 v34, 5, v16
	v_add_lshl_u32 v32, v0, v14, 1
	v_and_b32_e32 v0, 0xfe, v33
	s_flbit_i32_b32 s0, s2
	v_and_b32_e32 v23, 0xfc, v33
	v_add_lshl_u32 v33, v0, v15, 1
	v_and_b32_e32 v0, 0x1fe, v34
	v_lshlrev_b32_e32 v2, 1, v2
	s_min_u32 s0, s0, 32
	v_and_b32_e32 v18, 0xf4, v7
	v_and_b32_e32 v24, 0x1fc, v34
	v_add_lshl_u32 v34, v0, v16, 1
	v_lshl_add_u64 v[0:1], s[22:23], 0, v[2:3]
	v_lshlrev_b32_e32 v2, 1, v6
	s_sub_i32 s27, 31, s0
	v_add_u32_e32 v18, v18, v10
	v_add_u32_e32 v19, v19, v11
	;; [unrolled: 1-line block ×7, first 2 shown]
	v_lshl_add_u64 v[0:1], v[0:1], 0, v[2:3]
	s_sub_i32 s22, s3, s24
	s_mov_b32 s23, 0x7f800000
	s_movk_i32 s28, 0x7fff
	s_mov_b32 s29, 0x7060302
	v_mov_b32_e32 v35, 2
	s_branch .LBB160_3
.LBB160_2:                              ;   in Loop: Header=BB160_3 Depth=1
	s_or_b64 exec, exec, s[0:1]
	s_add_i32 s24, s24, s26
	s_sub_i32 s22, s22, s26
	s_cmp_ge_i32 s24, s26
	s_cbranch_scc1 .LBB160_67
.LBB160_3:                              ; =>This Inner Loop Header: Depth=1
	s_waitcnt lgkmcnt(0)
	v_add_u32_e32 v2, s24, v8
	v_lshrrev_b32_e32 v2, s27, v2
	v_lshl_add_u64 v[6:7], v[2:3], 2, s[20:21]
	global_load_dword v2, v[6:7], off
	s_min_i32 s14, s22, 0x200
	s_ashr_i32 s25, s24, 31
	v_lshl_add_u64 v[6:7], v[4:5], 0, s[24:25]
	v_cmp_gt_u32_e32 vcc, s14, v9
	v_mov_b32_e32 v36, 0x80
	v_mov_b32_e32 v37, 0x80
	;; [unrolled: 1-line block ×7, first 2 shown]
	s_barrier
	s_and_saveexec_b64 s[0:1], vcc
	s_cbranch_execz .LBB160_5
; %bb.4:                                ;   in Loop: Header=BB160_3 Depth=1
	global_load_ubyte v37, v[6:7], off
	v_mov_b32_e32 v36, 0x80
	v_mov_b32_e32 v38, 0x80
	;; [unrolled: 1-line block ×6, first 2 shown]
.LBB160_5:                              ;   in Loop: Header=BB160_3 Depth=1
	s_or_b64 exec, exec, s[0:1]
	v_cmp_gt_u32_e64 s[0:1], s14, v10
	v_mov_b32_e32 v43, v36
	s_and_saveexec_b64 s[2:3], s[0:1]
	s_cbranch_execnz .LBB160_53
; %bb.6:                                ;   in Loop: Header=BB160_3 Depth=1
	s_or_b64 exec, exec, s[2:3]
	v_cmp_gt_u32_e64 s[2:3], s14, v11
	s_and_saveexec_b64 s[4:5], s[2:3]
	s_cbranch_execnz .LBB160_54
.LBB160_7:                              ;   in Loop: Header=BB160_3 Depth=1
	s_or_b64 exec, exec, s[4:5]
	v_cmp_gt_u32_e64 s[4:5], s14, v12
	s_and_saveexec_b64 s[6:7], s[4:5]
	s_cbranch_execnz .LBB160_55
.LBB160_8:                              ;   in Loop: Header=BB160_3 Depth=1
	s_or_b64 exec, exec, s[6:7]
	v_cmp_gt_u32_e64 s[6:7], s14, v13
	s_and_saveexec_b64 s[8:9], s[6:7]
	s_cbranch_execnz .LBB160_56
.LBB160_9:                              ;   in Loop: Header=BB160_3 Depth=1
	s_or_b64 exec, exec, s[8:9]
	v_cmp_gt_u32_e64 s[8:9], s14, v14
	s_and_saveexec_b64 s[10:11], s[8:9]
	s_cbranch_execnz .LBB160_57
.LBB160_10:                             ;   in Loop: Header=BB160_3 Depth=1
	s_or_b64 exec, exec, s[10:11]
	v_cmp_gt_u32_e64 s[10:11], s14, v15
	s_and_saveexec_b64 s[12:13], s[10:11]
	s_cbranch_execnz .LBB160_58
.LBB160_11:                             ;   in Loop: Header=BB160_3 Depth=1
	s_or_b64 exec, exec, s[12:13]
	v_cmp_gt_u32_e64 s[12:13], s14, v16
	s_and_saveexec_b64 s[14:15], s[12:13]
	s_cbranch_execz .LBB160_13
.LBB160_12:                             ;   in Loop: Header=BB160_3 Depth=1
	global_load_ubyte v42, v[6:7], off offset:448
.LBB160_13:                             ;   in Loop: Header=BB160_3 Depth=1
	s_or_b64 exec, exec, s[14:15]
	s_waitcnt vmcnt(0)
	ds_write_b8 v17, v37 offset:1056
	ds_write_b8 v18, v43 offset:1056
	;; [unrolled: 1-line block ×8, first 2 shown]
	; wave barrier
	ds_read_b64 v[6:7], v25 offset:1056
	s_waitcnt lgkmcnt(0)
	v_lshlrev_b32_sdwa v36, v35, v6 dst_sel:DWORD dst_unused:UNUSED_PAD src0_sel:DWORD src1_sel:BYTE_0
	global_load_dword v36, v36, s[16:17]
	s_waitcnt vmcnt(0)
	v_mul_f32_e32 v37, v2, v36
	v_and_b32_e32 v36, 0x7f800000, v37
	v_cmp_ne_u32_e64 s[14:15], s23, v36
                                        ; implicit-def: $vgpr36
	s_and_saveexec_b64 s[18:19], s[14:15]
	s_xor_b64 s[14:15], exec, s[18:19]
; %bb.14:                               ;   in Loop: Header=BB160_3 Depth=1
	v_bfe_u32 v36, v37, 16, 1
	v_add3_u32 v36, v37, v36, s28
                                        ; implicit-def: $vgpr37
; %bb.15:                               ;   in Loop: Header=BB160_3 Depth=1
	s_andn2_saveexec_b64 s[18:19], s[14:15]
; %bb.16:                               ;   in Loop: Header=BB160_3 Depth=1
	v_or_b32_e32 v36, 0x10000, v37
	v_cmp_eq_u32_sdwa s[14:15], v37, v3 src0_sel:WORD_0 src1_sel:DWORD
	s_nop 1
	v_cndmask_b32_e64 v36, v36, v37, s[14:15]
; %bb.17:                               ;   in Loop: Header=BB160_3 Depth=1
	s_or_b64 exec, exec, s[18:19]
	v_lshlrev_b32_sdwa v37, v35, v6 dst_sel:DWORD dst_unused:UNUSED_PAD src0_sel:DWORD src1_sel:BYTE_1
	global_load_dword v37, v37, s[16:17]
	s_waitcnt vmcnt(0)
	v_mul_f32_e32 v38, v2, v37
	v_and_b32_e32 v37, 0x7f800000, v38
	v_cmp_ne_u32_e64 s[14:15], s23, v37
                                        ; implicit-def: $vgpr37
	s_and_saveexec_b64 s[18:19], s[14:15]
	s_xor_b64 s[14:15], exec, s[18:19]
; %bb.18:                               ;   in Loop: Header=BB160_3 Depth=1
	v_bfe_u32 v37, v38, 16, 1
	v_add3_u32 v37, v38, v37, s28
                                        ; implicit-def: $vgpr38
; %bb.19:                               ;   in Loop: Header=BB160_3 Depth=1
	s_andn2_saveexec_b64 s[18:19], s[14:15]
; %bb.20:                               ;   in Loop: Header=BB160_3 Depth=1
	v_or_b32_e32 v37, 0x10000, v38
	v_cmp_eq_u32_sdwa s[14:15], v38, v3 src0_sel:WORD_0 src1_sel:DWORD
	s_nop 1
	v_cndmask_b32_e64 v37, v37, v38, s[14:15]
; %bb.21:                               ;   in Loop: Header=BB160_3 Depth=1
	s_or_b64 exec, exec, s[18:19]
	v_lshlrev_b32_sdwa v38, v35, v6 dst_sel:DWORD dst_unused:UNUSED_PAD src0_sel:DWORD src1_sel:BYTE_2
	global_load_dword v38, v38, s[16:17]
	s_waitcnt vmcnt(0)
	v_mul_f32_e32 v39, v2, v38
	v_and_b32_e32 v38, 0x7f800000, v39
	v_cmp_ne_u32_e64 s[14:15], s23, v38
                                        ; implicit-def: $vgpr38
	s_and_saveexec_b64 s[18:19], s[14:15]
	s_xor_b64 s[14:15], exec, s[18:19]
; %bb.22:                               ;   in Loop: Header=BB160_3 Depth=1
	v_bfe_u32 v38, v39, 16, 1
	v_add3_u32 v38, v39, v38, s28
                                        ; implicit-def: $vgpr39
; %bb.23:                               ;   in Loop: Header=BB160_3 Depth=1
	s_andn2_saveexec_b64 s[18:19], s[14:15]
; %bb.24:                               ;   in Loop: Header=BB160_3 Depth=1
	v_or_b32_e32 v38, 0x10000, v39
	v_cmp_eq_u32_sdwa s[14:15], v39, v3 src0_sel:WORD_0 src1_sel:DWORD
	s_nop 1
	v_cndmask_b32_e64 v38, v38, v39, s[14:15]
; %bb.25:                               ;   in Loop: Header=BB160_3 Depth=1
	s_or_b64 exec, exec, s[18:19]
	v_lshlrev_b32_sdwa v6, v35, v6 dst_sel:DWORD dst_unused:UNUSED_PAD src0_sel:DWORD src1_sel:BYTE_3
	global_load_dword v6, v6, s[16:17]
	s_waitcnt vmcnt(0)
	v_mul_f32_e32 v39, v2, v6
	v_and_b32_e32 v6, 0x7f800000, v39
	v_cmp_ne_u32_e64 s[14:15], s23, v6
                                        ; implicit-def: $vgpr6
	s_and_saveexec_b64 s[18:19], s[14:15]
	s_xor_b64 s[14:15], exec, s[18:19]
; %bb.26:                               ;   in Loop: Header=BB160_3 Depth=1
	v_bfe_u32 v6, v39, 16, 1
	v_add3_u32 v6, v39, v6, s28
                                        ; implicit-def: $vgpr39
; %bb.27:                               ;   in Loop: Header=BB160_3 Depth=1
	s_andn2_saveexec_b64 s[18:19], s[14:15]
; %bb.28:                               ;   in Loop: Header=BB160_3 Depth=1
	v_or_b32_e32 v6, 0x10000, v39
	v_cmp_eq_u32_sdwa s[14:15], v39, v3 src0_sel:WORD_0 src1_sel:DWORD
	s_nop 1
	v_cndmask_b32_e64 v6, v6, v39, s[14:15]
; %bb.29:                               ;   in Loop: Header=BB160_3 Depth=1
	s_or_b64 exec, exec, s[18:19]
	v_lshlrev_b32_sdwa v39, v35, v7 dst_sel:DWORD dst_unused:UNUSED_PAD src0_sel:DWORD src1_sel:BYTE_0
	global_load_dword v39, v39, s[16:17]
	s_waitcnt vmcnt(0)
	v_mul_f32_e32 v40, v2, v39
	v_and_b32_e32 v39, 0x7f800000, v40
	v_cmp_ne_u32_e64 s[14:15], s23, v39
                                        ; implicit-def: $vgpr39
	s_and_saveexec_b64 s[18:19], s[14:15]
	s_xor_b64 s[14:15], exec, s[18:19]
; %bb.30:                               ;   in Loop: Header=BB160_3 Depth=1
	v_bfe_u32 v39, v40, 16, 1
	v_add3_u32 v39, v40, v39, s28
                                        ; implicit-def: $vgpr40
; %bb.31:                               ;   in Loop: Header=BB160_3 Depth=1
	s_andn2_saveexec_b64 s[18:19], s[14:15]
; %bb.32:                               ;   in Loop: Header=BB160_3 Depth=1
	v_or_b32_e32 v39, 0x10000, v40
	v_cmp_eq_u32_sdwa s[14:15], v40, v3 src0_sel:WORD_0 src1_sel:DWORD
	s_nop 1
	v_cndmask_b32_e64 v39, v39, v40, s[14:15]
; %bb.33:                               ;   in Loop: Header=BB160_3 Depth=1
	s_or_b64 exec, exec, s[18:19]
	v_lshlrev_b32_sdwa v40, v35, v7 dst_sel:DWORD dst_unused:UNUSED_PAD src0_sel:DWORD src1_sel:BYTE_1
	global_load_dword v40, v40, s[16:17]
	s_waitcnt vmcnt(0)
	v_mul_f32_e32 v41, v2, v40
	v_and_b32_e32 v40, 0x7f800000, v41
	v_cmp_ne_u32_e64 s[14:15], s23, v40
                                        ; implicit-def: $vgpr40
	s_and_saveexec_b64 s[18:19], s[14:15]
	s_xor_b64 s[14:15], exec, s[18:19]
; %bb.34:                               ;   in Loop: Header=BB160_3 Depth=1
	v_bfe_u32 v40, v41, 16, 1
	v_add3_u32 v40, v41, v40, s28
                                        ; implicit-def: $vgpr41
; %bb.35:                               ;   in Loop: Header=BB160_3 Depth=1
	s_andn2_saveexec_b64 s[18:19], s[14:15]
; %bb.36:                               ;   in Loop: Header=BB160_3 Depth=1
	v_or_b32_e32 v40, 0x10000, v41
	v_cmp_eq_u32_sdwa s[14:15], v41, v3 src0_sel:WORD_0 src1_sel:DWORD
	s_nop 1
	v_cndmask_b32_e64 v40, v40, v41, s[14:15]
; %bb.37:                               ;   in Loop: Header=BB160_3 Depth=1
	s_or_b64 exec, exec, s[18:19]
	v_lshlrev_b32_sdwa v41, v35, v7 dst_sel:DWORD dst_unused:UNUSED_PAD src0_sel:DWORD src1_sel:BYTE_2
	global_load_dword v41, v41, s[16:17]
	s_waitcnt vmcnt(0)
	v_mul_f32_e32 v42, v2, v41
	v_and_b32_e32 v41, 0x7f800000, v42
	v_cmp_ne_u32_e64 s[14:15], s23, v41
                                        ; implicit-def: $vgpr41
	s_and_saveexec_b64 s[18:19], s[14:15]
	s_xor_b64 s[14:15], exec, s[18:19]
; %bb.38:                               ;   in Loop: Header=BB160_3 Depth=1
	v_bfe_u32 v41, v42, 16, 1
	v_add3_u32 v41, v42, v41, s28
                                        ; implicit-def: $vgpr42
; %bb.39:                               ;   in Loop: Header=BB160_3 Depth=1
	s_andn2_saveexec_b64 s[18:19], s[14:15]
; %bb.40:                               ;   in Loop: Header=BB160_3 Depth=1
	v_or_b32_e32 v41, 0x10000, v42
	v_cmp_eq_u32_sdwa s[14:15], v42, v3 src0_sel:WORD_0 src1_sel:DWORD
	s_nop 1
	v_cndmask_b32_e64 v41, v41, v42, s[14:15]
; %bb.41:                               ;   in Loop: Header=BB160_3 Depth=1
	s_or_b64 exec, exec, s[18:19]
	v_lshlrev_b32_sdwa v7, v35, v7 dst_sel:DWORD dst_unused:UNUSED_PAD src0_sel:DWORD src1_sel:BYTE_3
	global_load_dword v7, v7, s[16:17]
	s_waitcnt vmcnt(0)
	v_mul_f32_e32 v7, v2, v7
	v_and_b32_e32 v2, 0x7f800000, v7
	v_cmp_ne_u32_e64 s[14:15], s23, v2
                                        ; implicit-def: $vgpr2
	s_and_saveexec_b64 s[18:19], s[14:15]
	s_xor_b64 s[14:15], exec, s[18:19]
; %bb.42:                               ;   in Loop: Header=BB160_3 Depth=1
	v_bfe_u32 v2, v7, 16, 1
	v_add3_u32 v2, v7, v2, s28
                                        ; implicit-def: $vgpr7
; %bb.43:                               ;   in Loop: Header=BB160_3 Depth=1
	s_andn2_saveexec_b64 s[18:19], s[14:15]
; %bb.44:                               ;   in Loop: Header=BB160_3 Depth=1
	v_or_b32_e32 v2, 0x10000, v7
	v_cmp_eq_u32_sdwa s[14:15], v7, v3 src0_sel:WORD_0 src1_sel:DWORD
	s_nop 1
	v_cndmask_b32_e64 v2, v2, v7, s[14:15]
; %bb.45:                               ;   in Loop: Header=BB160_3 Depth=1
	s_or_b64 exec, exec, s[18:19]
	v_perm_b32 v41, v2, v41, s29
	v_perm_b32 v40, v40, v39, s29
	;; [unrolled: 1-line block ×4, first 2 shown]
	s_barrier
	ds_write_b128 v26, v[38:41]
	; wave barrier
	ds_read_u16 v41, v28
	ds_read_u16 v40, v29
	;; [unrolled: 1-line block ×7, first 2 shown]
	v_lshl_add_u64 v[6:7], s[24:25], 1, v[0:1]
	s_and_saveexec_b64 s[14:15], vcc
	s_xor_b64 s[14:15], exec, s[14:15]
	s_cbranch_execnz .LBB160_59
; %bb.46:                               ;   in Loop: Header=BB160_3 Depth=1
	s_or_b64 exec, exec, s[14:15]
	s_and_saveexec_b64 s[14:15], s[0:1]
	s_cbranch_execnz .LBB160_60
.LBB160_47:                             ;   in Loop: Header=BB160_3 Depth=1
	s_or_b64 exec, exec, s[14:15]
	s_and_saveexec_b64 s[0:1], s[2:3]
	s_cbranch_execnz .LBB160_61
.LBB160_48:                             ;   in Loop: Header=BB160_3 Depth=1
	s_or_b64 exec, exec, s[0:1]
	s_and_saveexec_b64 s[0:1], s[4:5]
	s_cbranch_execnz .LBB160_62
.LBB160_49:                             ;   in Loop: Header=BB160_3 Depth=1
	s_or_b64 exec, exec, s[0:1]
	s_and_saveexec_b64 s[0:1], s[6:7]
	s_cbranch_execnz .LBB160_63
.LBB160_50:                             ;   in Loop: Header=BB160_3 Depth=1
	s_or_b64 exec, exec, s[0:1]
	s_and_saveexec_b64 s[0:1], s[8:9]
	s_cbranch_execnz .LBB160_64
.LBB160_51:                             ;   in Loop: Header=BB160_3 Depth=1
	s_or_b64 exec, exec, s[0:1]
	s_and_saveexec_b64 s[0:1], s[10:11]
	s_cbranch_execnz .LBB160_65
.LBB160_52:                             ;   in Loop: Header=BB160_3 Depth=1
	s_or_b64 exec, exec, s[0:1]
	s_and_saveexec_b64 s[0:1], s[12:13]
	s_cbranch_execz .LBB160_2
	s_branch .LBB160_66
.LBB160_53:                             ;   in Loop: Header=BB160_3 Depth=1
	global_load_ubyte v43, v[6:7], off offset:64
	s_or_b64 exec, exec, s[2:3]
	v_cmp_gt_u32_e64 s[2:3], s14, v11
	s_and_saveexec_b64 s[4:5], s[2:3]
	s_cbranch_execz .LBB160_7
.LBB160_54:                             ;   in Loop: Header=BB160_3 Depth=1
	global_load_ubyte v36, v[6:7], off offset:128
	s_or_b64 exec, exec, s[4:5]
	v_cmp_gt_u32_e64 s[4:5], s14, v12
	s_and_saveexec_b64 s[6:7], s[4:5]
	s_cbranch_execz .LBB160_8
.LBB160_55:                             ;   in Loop: Header=BB160_3 Depth=1
	global_load_ubyte v38, v[6:7], off offset:192
	s_or_b64 exec, exec, s[6:7]
	v_cmp_gt_u32_e64 s[6:7], s14, v13
	s_and_saveexec_b64 s[8:9], s[6:7]
	s_cbranch_execz .LBB160_9
.LBB160_56:                             ;   in Loop: Header=BB160_3 Depth=1
	global_load_ubyte v39, v[6:7], off offset:256
	s_or_b64 exec, exec, s[8:9]
	v_cmp_gt_u32_e64 s[8:9], s14, v14
	s_and_saveexec_b64 s[10:11], s[8:9]
	s_cbranch_execz .LBB160_10
.LBB160_57:                             ;   in Loop: Header=BB160_3 Depth=1
	global_load_ubyte v40, v[6:7], off offset:320
	s_or_b64 exec, exec, s[10:11]
	v_cmp_gt_u32_e64 s[10:11], s14, v15
	s_and_saveexec_b64 s[12:13], s[10:11]
	s_cbranch_execz .LBB160_11
.LBB160_58:                             ;   in Loop: Header=BB160_3 Depth=1
	global_load_ubyte v41, v[6:7], off offset:384
	s_or_b64 exec, exec, s[12:13]
	v_cmp_gt_u32_e64 s[12:13], s14, v16
	s_and_saveexec_b64 s[14:15], s[12:13]
	s_cbranch_execnz .LBB160_12
	s_branch .LBB160_13
.LBB160_59:                             ;   in Loop: Header=BB160_3 Depth=1
	ds_read_u16 v42, v27
	s_waitcnt lgkmcnt(0)
	global_store_short v[6:7], v42, off
	s_or_b64 exec, exec, s[14:15]
	s_and_saveexec_b64 s[14:15], s[0:1]
	s_cbranch_execz .LBB160_47
.LBB160_60:                             ;   in Loop: Header=BB160_3 Depth=1
	s_waitcnt lgkmcnt(6)
	global_store_short v[6:7], v41, off offset:128
	s_or_b64 exec, exec, s[14:15]
	s_and_saveexec_b64 s[0:1], s[2:3]
	s_cbranch_execz .LBB160_48
.LBB160_61:                             ;   in Loop: Header=BB160_3 Depth=1
	s_waitcnt lgkmcnt(5)
	global_store_short v[6:7], v40, off offset:256
	s_or_b64 exec, exec, s[0:1]
	s_and_saveexec_b64 s[0:1], s[4:5]
	s_cbranch_execz .LBB160_49
.LBB160_62:                             ;   in Loop: Header=BB160_3 Depth=1
	s_waitcnt lgkmcnt(4)
	global_store_short v[6:7], v39, off offset:384
	s_or_b64 exec, exec, s[0:1]
	s_and_saveexec_b64 s[0:1], s[6:7]
	s_cbranch_execz .LBB160_50
.LBB160_63:                             ;   in Loop: Header=BB160_3 Depth=1
	s_waitcnt lgkmcnt(3)
	global_store_short v[6:7], v38, off offset:512
	s_or_b64 exec, exec, s[0:1]
	s_and_saveexec_b64 s[0:1], s[8:9]
	s_cbranch_execz .LBB160_51
.LBB160_64:                             ;   in Loop: Header=BB160_3 Depth=1
	s_waitcnt lgkmcnt(2)
	global_store_short v[6:7], v37, off offset:640
	s_or_b64 exec, exec, s[0:1]
	s_and_saveexec_b64 s[0:1], s[10:11]
	s_cbranch_execz .LBB160_52
.LBB160_65:                             ;   in Loop: Header=BB160_3 Depth=1
	s_waitcnt lgkmcnt(1)
	global_store_short v[6:7], v36, off offset:768
	s_or_b64 exec, exec, s[0:1]
	s_and_saveexec_b64 s[0:1], s[12:13]
	s_cbranch_execz .LBB160_2
.LBB160_66:                             ;   in Loop: Header=BB160_3 Depth=1
	s_waitcnt lgkmcnt(0)
	global_store_short v[6:7], v2, off offset:896
	s_branch .LBB160_2
.LBB160_67:
	s_endpgm
	.section	.rodata,"a",@progbits
	.p2align	6, 0x0
	.amdhsa_kernel _Z20kDequantizeBlockwiseI12hip_bfloat16Li512ELi64ELi8ELi0EEvPfPhS1_PT_ii
		.amdhsa_group_segment_fixed_size 1584
		.amdhsa_private_segment_fixed_size 0
		.amdhsa_kernarg_size 296
		.amdhsa_user_sgpr_count 2
		.amdhsa_user_sgpr_dispatch_ptr 0
		.amdhsa_user_sgpr_queue_ptr 0
		.amdhsa_user_sgpr_kernarg_segment_ptr 1
		.amdhsa_user_sgpr_dispatch_id 0
		.amdhsa_user_sgpr_kernarg_preload_length 0
		.amdhsa_user_sgpr_kernarg_preload_offset 0
		.amdhsa_user_sgpr_private_segment_size 0
		.amdhsa_uses_dynamic_stack 0
		.amdhsa_enable_private_segment 0
		.amdhsa_system_sgpr_workgroup_id_x 1
		.amdhsa_system_sgpr_workgroup_id_y 0
		.amdhsa_system_sgpr_workgroup_id_z 0
		.amdhsa_system_sgpr_workgroup_info 0
		.amdhsa_system_vgpr_workitem_id 0
		.amdhsa_next_free_vgpr 44
		.amdhsa_next_free_sgpr 30
		.amdhsa_accum_offset 44
		.amdhsa_reserve_vcc 1
		.amdhsa_float_round_mode_32 0
		.amdhsa_float_round_mode_16_64 0
		.amdhsa_float_denorm_mode_32 3
		.amdhsa_float_denorm_mode_16_64 3
		.amdhsa_dx10_clamp 1
		.amdhsa_ieee_mode 1
		.amdhsa_fp16_overflow 0
		.amdhsa_tg_split 0
		.amdhsa_exception_fp_ieee_invalid_op 0
		.amdhsa_exception_fp_denorm_src 0
		.amdhsa_exception_fp_ieee_div_zero 0
		.amdhsa_exception_fp_ieee_overflow 0
		.amdhsa_exception_fp_ieee_underflow 0
		.amdhsa_exception_fp_ieee_inexact 0
		.amdhsa_exception_int_div_zero 0
	.end_amdhsa_kernel
	.section	.text._Z20kDequantizeBlockwiseI12hip_bfloat16Li512ELi64ELi8ELi0EEvPfPhS1_PT_ii,"axG",@progbits,_Z20kDequantizeBlockwiseI12hip_bfloat16Li512ELi64ELi8ELi0EEvPfPhS1_PT_ii,comdat
.Lfunc_end160:
	.size	_Z20kDequantizeBlockwiseI12hip_bfloat16Li512ELi64ELi8ELi0EEvPfPhS1_PT_ii, .Lfunc_end160-_Z20kDequantizeBlockwiseI12hip_bfloat16Li512ELi64ELi8ELi0EEvPfPhS1_PT_ii
                                        ; -- End function
	.section	.AMDGPU.csdata,"",@progbits
; Kernel info:
; codeLenInByte = 2340
; NumSgprs: 36
; NumVgprs: 44
; NumAgprs: 0
; TotalNumVgprs: 44
; ScratchSize: 0
; MemoryBound: 0
; FloatMode: 240
; IeeeMode: 1
; LDSByteSize: 1584 bytes/workgroup (compile time only)
; SGPRBlocks: 4
; VGPRBlocks: 5
; NumSGPRsForWavesPerEU: 36
; NumVGPRsForWavesPerEU: 44
; AccumOffset: 44
; Occupancy: 8
; WaveLimiterHint : 0
; COMPUTE_PGM_RSRC2:SCRATCH_EN: 0
; COMPUTE_PGM_RSRC2:USER_SGPR: 2
; COMPUTE_PGM_RSRC2:TRAP_HANDLER: 0
; COMPUTE_PGM_RSRC2:TGID_X_EN: 1
; COMPUTE_PGM_RSRC2:TGID_Y_EN: 0
; COMPUTE_PGM_RSRC2:TGID_Z_EN: 0
; COMPUTE_PGM_RSRC2:TIDIG_COMP_CNT: 0
; COMPUTE_PGM_RSRC3_GFX90A:ACCUM_OFFSET: 10
; COMPUTE_PGM_RSRC3_GFX90A:TG_SPLIT: 0
	.section	.text._Z20kDequantizeBlockwiseI12hip_bfloat16Li512ELi64ELi8ELi2EEvPfPhS1_PT_ii,"axG",@progbits,_Z20kDequantizeBlockwiseI12hip_bfloat16Li512ELi64ELi8ELi2EEvPfPhS1_PT_ii,comdat
